;; amdgpu-corpus repo=ROCm/rocFFT kind=compiled arch=gfx1201 opt=O3
	.text
	.amdgcn_target "amdgcn-amd-amdhsa--gfx1201"
	.amdhsa_code_object_version 6
	.protected	fft_rtc_back_len1280_factors_16_5_16_wgs_80_tpt_80_halfLds_half_op_CI_CI_unitstride_sbrr_dirReg ; -- Begin function fft_rtc_back_len1280_factors_16_5_16_wgs_80_tpt_80_halfLds_half_op_CI_CI_unitstride_sbrr_dirReg
	.globl	fft_rtc_back_len1280_factors_16_5_16_wgs_80_tpt_80_halfLds_half_op_CI_CI_unitstride_sbrr_dirReg
	.p2align	8
	.type	fft_rtc_back_len1280_factors_16_5_16_wgs_80_tpt_80_halfLds_half_op_CI_CI_unitstride_sbrr_dirReg,@function
fft_rtc_back_len1280_factors_16_5_16_wgs_80_tpt_80_halfLds_half_op_CI_CI_unitstride_sbrr_dirReg: ; @fft_rtc_back_len1280_factors_16_5_16_wgs_80_tpt_80_halfLds_half_op_CI_CI_unitstride_sbrr_dirReg
; %bb.0:
	s_clause 0x2
	s_load_b128 s[8:11], s[0:1], 0x0
	s_load_b128 s[4:7], s[0:1], 0x58
	;; [unrolled: 1-line block ×3, first 2 shown]
	v_mul_u32_u24_e32 v1, 0x334, v0
	v_mov_b32_e32 v6, 0
	v_mov_b32_e32 v7, 0
	s_delay_alu instid0(VALU_DEP_3) | instskip(NEXT) | instid1(VALU_DEP_1)
	v_lshrrev_b32_e32 v1, 16, v1
	v_dual_mov_b32 v3, 0 :: v_dual_add_nc_u32 v8, ttmp9, v1
	s_delay_alu instid0(VALU_DEP_1) | instskip(SKIP_2) | instid1(VALU_DEP_1)
	v_mov_b32_e32 v9, v3
	s_wait_kmcnt 0x0
	v_cmp_lt_u64_e64 s2, s[10:11], 2
	s_and_b32 vcc_lo, exec_lo, s2
	s_cbranch_vccnz .LBB0_8
; %bb.1:
	s_load_b64 s[2:3], s[0:1], 0x10
	v_mov_b32_e32 v6, 0
	v_mov_b32_e32 v7, 0
	s_delay_alu instid0(VALU_DEP_2)
	v_mov_b32_e32 v1, v6
	s_add_nc_u64 s[16:17], s[14:15], 8
	s_add_nc_u64 s[18:19], s[12:13], 8
	s_mov_b64 s[20:21], 1
	v_mov_b32_e32 v2, v7
	s_wait_kmcnt 0x0
	s_add_nc_u64 s[22:23], s[2:3], 8
	s_mov_b32 s3, 0
.LBB0_2:                                ; =>This Inner Loop Header: Depth=1
	s_load_b64 s[24:25], s[22:23], 0x0
	s_wait_kmcnt 0x0
	s_delay_alu instid0(VALU_DEP_1) | instskip(NEXT) | instid1(VALU_DEP_1)
	v_or_b32_e32 v4, s25, v9
	v_cmp_ne_u64_e32 vcc_lo, 0, v[3:4]
                                        ; implicit-def: $vgpr4_vgpr5
	s_and_saveexec_b32 s2, vcc_lo
	s_wait_alu 0xfffe
	s_xor_b32 s26, exec_lo, s2
	s_cbranch_execz .LBB0_4
; %bb.3:                                ;   in Loop: Header=BB0_2 Depth=1
	s_cvt_f32_u32 s2, s24
	s_cvt_f32_u32 s27, s25
	s_sub_nc_u64 s[30:31], 0, s[24:25]
	s_wait_alu 0xfffe
	s_delay_alu instid0(SALU_CYCLE_1) | instskip(SKIP_1) | instid1(SALU_CYCLE_2)
	s_fmamk_f32 s2, s27, 0x4f800000, s2
	s_wait_alu 0xfffe
	v_s_rcp_f32 s2, s2
	s_delay_alu instid0(TRANS32_DEP_1) | instskip(SKIP_1) | instid1(SALU_CYCLE_2)
	s_mul_f32 s2, s2, 0x5f7ffffc
	s_wait_alu 0xfffe
	s_mul_f32 s27, s2, 0x2f800000
	s_wait_alu 0xfffe
	s_delay_alu instid0(SALU_CYCLE_2) | instskip(SKIP_1) | instid1(SALU_CYCLE_2)
	s_trunc_f32 s27, s27
	s_wait_alu 0xfffe
	s_fmamk_f32 s2, s27, 0xcf800000, s2
	s_cvt_u32_f32 s29, s27
	s_wait_alu 0xfffe
	s_delay_alu instid0(SALU_CYCLE_1) | instskip(SKIP_1) | instid1(SALU_CYCLE_2)
	s_cvt_u32_f32 s28, s2
	s_wait_alu 0xfffe
	s_mul_u64 s[34:35], s[30:31], s[28:29]
	s_wait_alu 0xfffe
	s_mul_hi_u32 s37, s28, s35
	s_mul_i32 s36, s28, s35
	s_mul_hi_u32 s2, s28, s34
	s_mul_i32 s33, s29, s34
	s_wait_alu 0xfffe
	s_add_nc_u64 s[36:37], s[2:3], s[36:37]
	s_mul_hi_u32 s27, s29, s34
	s_mul_hi_u32 s38, s29, s35
	s_add_co_u32 s2, s36, s33
	s_wait_alu 0xfffe
	s_add_co_ci_u32 s2, s37, s27
	s_mul_i32 s34, s29, s35
	s_add_co_ci_u32 s35, s38, 0
	s_wait_alu 0xfffe
	s_add_nc_u64 s[34:35], s[2:3], s[34:35]
	s_wait_alu 0xfffe
	v_add_co_u32 v4, s2, s28, s34
	s_delay_alu instid0(VALU_DEP_1) | instskip(SKIP_1) | instid1(VALU_DEP_1)
	s_cmp_lg_u32 s2, 0
	s_add_co_ci_u32 s29, s29, s35
	v_readfirstlane_b32 s28, v4
	s_wait_alu 0xfffe
	s_delay_alu instid0(VALU_DEP_1)
	s_mul_u64 s[30:31], s[30:31], s[28:29]
	s_wait_alu 0xfffe
	s_mul_hi_u32 s35, s28, s31
	s_mul_i32 s34, s28, s31
	s_mul_hi_u32 s2, s28, s30
	s_mul_i32 s33, s29, s30
	s_wait_alu 0xfffe
	s_add_nc_u64 s[34:35], s[2:3], s[34:35]
	s_mul_hi_u32 s27, s29, s30
	s_mul_hi_u32 s28, s29, s31
	s_wait_alu 0xfffe
	s_add_co_u32 s2, s34, s33
	s_add_co_ci_u32 s2, s35, s27
	s_mul_i32 s30, s29, s31
	s_add_co_ci_u32 s31, s28, 0
	s_wait_alu 0xfffe
	s_add_nc_u64 s[30:31], s[2:3], s[30:31]
	s_wait_alu 0xfffe
	v_add_co_u32 v10, s2, v4, s30
	s_delay_alu instid0(VALU_DEP_1) | instskip(SKIP_1) | instid1(VALU_DEP_1)
	s_cmp_lg_u32 s2, 0
	s_add_co_ci_u32 s2, s29, s31
	v_mul_hi_u32 v14, v8, v10
	s_wait_alu 0xfffe
	v_mad_co_u64_u32 v[4:5], null, v8, s2, 0
	v_mad_co_u64_u32 v[10:11], null, v9, v10, 0
	;; [unrolled: 1-line block ×3, first 2 shown]
	s_delay_alu instid0(VALU_DEP_3) | instskip(SKIP_1) | instid1(VALU_DEP_4)
	v_add_co_u32 v4, vcc_lo, v14, v4
	s_wait_alu 0xfffd
	v_add_co_ci_u32_e32 v5, vcc_lo, 0, v5, vcc_lo
	s_delay_alu instid0(VALU_DEP_2) | instskip(SKIP_1) | instid1(VALU_DEP_2)
	v_add_co_u32 v4, vcc_lo, v4, v10
	s_wait_alu 0xfffd
	v_add_co_ci_u32_e32 v4, vcc_lo, v5, v11, vcc_lo
	s_wait_alu 0xfffd
	v_add_co_ci_u32_e32 v5, vcc_lo, 0, v13, vcc_lo
	s_delay_alu instid0(VALU_DEP_2) | instskip(SKIP_1) | instid1(VALU_DEP_2)
	v_add_co_u32 v10, vcc_lo, v4, v12
	s_wait_alu 0xfffd
	v_add_co_ci_u32_e32 v11, vcc_lo, 0, v5, vcc_lo
	s_delay_alu instid0(VALU_DEP_2) | instskip(SKIP_1) | instid1(VALU_DEP_3)
	v_mul_lo_u32 v12, s25, v10
	v_mad_co_u64_u32 v[4:5], null, s24, v10, 0
	v_mul_lo_u32 v13, s24, v11
	s_delay_alu instid0(VALU_DEP_2) | instskip(NEXT) | instid1(VALU_DEP_2)
	v_sub_co_u32 v4, vcc_lo, v8, v4
	v_add3_u32 v5, v5, v13, v12
	s_delay_alu instid0(VALU_DEP_1) | instskip(SKIP_1) | instid1(VALU_DEP_1)
	v_sub_nc_u32_e32 v12, v9, v5
	s_wait_alu 0xfffd
	v_subrev_co_ci_u32_e64 v12, s2, s25, v12, vcc_lo
	v_add_co_u32 v13, s2, v10, 2
	s_wait_alu 0xf1ff
	v_add_co_ci_u32_e64 v14, s2, 0, v11, s2
	v_sub_co_u32 v15, s2, v4, s24
	v_sub_co_ci_u32_e32 v5, vcc_lo, v9, v5, vcc_lo
	s_wait_alu 0xf1ff
	v_subrev_co_ci_u32_e64 v12, s2, 0, v12, s2
	s_delay_alu instid0(VALU_DEP_3) | instskip(NEXT) | instid1(VALU_DEP_3)
	v_cmp_le_u32_e32 vcc_lo, s24, v15
	v_cmp_eq_u32_e64 s2, s25, v5
	s_wait_alu 0xfffd
	v_cndmask_b32_e64 v15, 0, -1, vcc_lo
	v_cmp_le_u32_e32 vcc_lo, s25, v12
	s_wait_alu 0xfffd
	v_cndmask_b32_e64 v16, 0, -1, vcc_lo
	v_cmp_le_u32_e32 vcc_lo, s24, v4
	;; [unrolled: 3-line block ×3, first 2 shown]
	s_wait_alu 0xfffd
	v_cndmask_b32_e64 v17, 0, -1, vcc_lo
	v_cmp_eq_u32_e32 vcc_lo, s25, v12
	s_wait_alu 0xf1ff
	s_delay_alu instid0(VALU_DEP_2)
	v_cndmask_b32_e64 v4, v17, v4, s2
	s_wait_alu 0xfffd
	v_cndmask_b32_e32 v12, v16, v15, vcc_lo
	v_add_co_u32 v15, vcc_lo, v10, 1
	s_wait_alu 0xfffd
	v_add_co_ci_u32_e32 v16, vcc_lo, 0, v11, vcc_lo
	s_delay_alu instid0(VALU_DEP_3) | instskip(SKIP_1) | instid1(VALU_DEP_2)
	v_cmp_ne_u32_e32 vcc_lo, 0, v12
	s_wait_alu 0xfffd
	v_dual_cndmask_b32 v5, v16, v14 :: v_dual_cndmask_b32 v12, v15, v13
	v_cmp_ne_u32_e32 vcc_lo, 0, v4
	s_wait_alu 0xfffd
	s_delay_alu instid0(VALU_DEP_2)
	v_dual_cndmask_b32 v5, v11, v5 :: v_dual_cndmask_b32 v4, v10, v12
.LBB0_4:                                ;   in Loop: Header=BB0_2 Depth=1
	s_wait_alu 0xfffe
	s_and_not1_saveexec_b32 s2, s26
	s_cbranch_execz .LBB0_6
; %bb.5:                                ;   in Loop: Header=BB0_2 Depth=1
	v_cvt_f32_u32_e32 v4, s24
	s_sub_co_i32 s26, 0, s24
	s_delay_alu instid0(VALU_DEP_1) | instskip(NEXT) | instid1(TRANS32_DEP_1)
	v_rcp_iflag_f32_e32 v4, v4
	v_mul_f32_e32 v4, 0x4f7ffffe, v4
	s_delay_alu instid0(VALU_DEP_1) | instskip(SKIP_1) | instid1(VALU_DEP_1)
	v_cvt_u32_f32_e32 v4, v4
	s_wait_alu 0xfffe
	v_mul_lo_u32 v5, s26, v4
	s_delay_alu instid0(VALU_DEP_1) | instskip(NEXT) | instid1(VALU_DEP_1)
	v_mul_hi_u32 v5, v4, v5
	v_add_nc_u32_e32 v4, v4, v5
	s_delay_alu instid0(VALU_DEP_1) | instskip(NEXT) | instid1(VALU_DEP_1)
	v_mul_hi_u32 v4, v8, v4
	v_mul_lo_u32 v5, v4, s24
	v_add_nc_u32_e32 v10, 1, v4
	s_delay_alu instid0(VALU_DEP_2) | instskip(NEXT) | instid1(VALU_DEP_1)
	v_sub_nc_u32_e32 v5, v8, v5
	v_subrev_nc_u32_e32 v11, s24, v5
	v_cmp_le_u32_e32 vcc_lo, s24, v5
	s_wait_alu 0xfffd
	s_delay_alu instid0(VALU_DEP_2) | instskip(NEXT) | instid1(VALU_DEP_1)
	v_dual_cndmask_b32 v5, v5, v11 :: v_dual_cndmask_b32 v4, v4, v10
	v_cmp_le_u32_e32 vcc_lo, s24, v5
	s_delay_alu instid0(VALU_DEP_2) | instskip(SKIP_1) | instid1(VALU_DEP_1)
	v_dual_mov_b32 v5, v3 :: v_dual_add_nc_u32 v10, 1, v4
	s_wait_alu 0xfffd
	v_cndmask_b32_e32 v4, v4, v10, vcc_lo
.LBB0_6:                                ;   in Loop: Header=BB0_2 Depth=1
	s_wait_alu 0xfffe
	s_or_b32 exec_lo, exec_lo, s2
	v_mul_lo_u32 v12, v5, s24
	s_delay_alu instid0(VALU_DEP_2)
	v_mul_lo_u32 v13, v4, s25
	s_load_b64 s[26:27], s[18:19], 0x0
	v_mad_co_u64_u32 v[10:11], null, v4, s24, 0
	s_load_b64 s[24:25], s[16:17], 0x0
	s_add_nc_u64 s[20:21], s[20:21], 1
	s_add_nc_u64 s[16:17], s[16:17], 8
	s_wait_alu 0xfffe
	v_cmp_ge_u64_e64 s2, s[20:21], s[10:11]
	s_add_nc_u64 s[18:19], s[18:19], 8
	s_add_nc_u64 s[22:23], s[22:23], 8
	v_add3_u32 v11, v11, v13, v12
	v_sub_co_u32 v8, vcc_lo, v8, v10
	s_wait_alu 0xfffd
	s_delay_alu instid0(VALU_DEP_2) | instskip(SKIP_2) | instid1(VALU_DEP_1)
	v_sub_co_ci_u32_e32 v9, vcc_lo, v9, v11, vcc_lo
	s_and_b32 vcc_lo, exec_lo, s2
	s_wait_kmcnt 0x0
	v_mul_lo_u32 v10, s26, v9
	v_mul_lo_u32 v11, s27, v8
	v_mad_co_u64_u32 v[6:7], null, s26, v8, v[6:7]
	v_mul_lo_u32 v9, s24, v9
	v_mul_lo_u32 v12, s25, v8
	v_mad_co_u64_u32 v[1:2], null, s24, v8, v[1:2]
	s_delay_alu instid0(VALU_DEP_4) | instskip(NEXT) | instid1(VALU_DEP_2)
	v_add3_u32 v7, v11, v7, v10
	v_add3_u32 v2, v12, v2, v9
	s_wait_alu 0xfffe
	s_cbranch_vccnz .LBB0_9
; %bb.7:                                ;   in Loop: Header=BB0_2 Depth=1
	v_dual_mov_b32 v9, v5 :: v_dual_mov_b32 v8, v4
	s_branch .LBB0_2
.LBB0_8:
	v_dual_mov_b32 v1, v6 :: v_dual_mov_b32 v2, v7
	v_dual_mov_b32 v4, v8 :: v_dual_mov_b32 v5, v9
.LBB0_9:
	s_load_b64 s[0:1], s[0:1], 0x28
	v_mul_hi_u32 v32, 0x3333334, v0
	s_lshl_b64 s[10:11], s[10:11], 3
                                        ; implicit-def: $sgpr2
                                        ; implicit-def: $vgpr8
	s_wait_kmcnt 0x0
	v_cmp_gt_u64_e32 vcc_lo, s[0:1], v[4:5]
	v_cmp_le_u64_e64 s0, s[0:1], v[4:5]
	s_delay_alu instid0(VALU_DEP_1)
	s_and_saveexec_b32 s1, s0
	s_wait_alu 0xfffe
	s_xor_b32 s0, exec_lo, s1
; %bb.10:
	v_mul_u32_u24_e32 v3, 0x50, v32
	s_mov_b32 s2, 0
                                        ; implicit-def: $vgpr32
                                        ; implicit-def: $vgpr6_vgpr7
	s_delay_alu instid0(VALU_DEP_1)
	v_sub_nc_u32_e32 v8, v0, v3
                                        ; implicit-def: $vgpr0
; %bb.11:
	s_wait_alu 0xfffe
	s_or_saveexec_b32 s1, s0
	v_dual_mov_b32 v3, s2 :: v_dual_mov_b32 v16, s2
	v_mov_b32_e32 v9, s2
	v_mov_b32_e32 v25, s2
	;; [unrolled: 1-line block ×7, first 2 shown]
	s_add_nc_u64 s[2:3], s[14:15], s[10:11]
                                        ; implicit-def: $vgpr10
                                        ; implicit-def: $vgpr19
                                        ; implicit-def: $vgpr26
                                        ; implicit-def: $vgpr14
                                        ; implicit-def: $vgpr30
                                        ; implicit-def: $vgpr22
                                        ; implicit-def: $vgpr20
                                        ; implicit-def: $vgpr12
                                        ; implicit-def: $vgpr33
                                        ; implicit-def: $vgpr29
                                        ; implicit-def: $vgpr27
                                        ; implicit-def: $vgpr18
                                        ; implicit-def: $vgpr31
                                        ; implicit-def: $vgpr28
                                        ; implicit-def: $vgpr24
                                        ; implicit-def: $vgpr17
	s_wait_alu 0xfffe
	s_xor_b32 exec_lo, exec_lo, s1
	s_cbranch_execz .LBB0_13
; %bb.12:
	s_add_nc_u64 s[10:11], s[12:13], s[10:11]
	v_lshlrev_b64_e32 v[6:7], 2, v[6:7]
	s_load_b64 s[10:11], s[10:11], 0x0
	s_wait_kmcnt 0x0
	v_mul_lo_u32 v3, s11, v4
	v_mul_lo_u32 v10, s10, v5
	v_mad_co_u64_u32 v[8:9], null, s10, v4, 0
	s_delay_alu instid0(VALU_DEP_1) | instskip(SKIP_1) | instid1(VALU_DEP_2)
	v_add3_u32 v9, v9, v10, v3
	v_mul_u32_u24_e32 v3, 0x50, v32
	v_lshlrev_b64_e32 v[9:10], 2, v[8:9]
	s_delay_alu instid0(VALU_DEP_2) | instskip(NEXT) | instid1(VALU_DEP_2)
	v_sub_nc_u32_e32 v8, v0, v3
	v_add_co_u32 v0, s0, s4, v9
	s_wait_alu 0xf1ff
	s_delay_alu instid0(VALU_DEP_3) | instskip(NEXT) | instid1(VALU_DEP_3)
	v_add_co_ci_u32_e64 v3, s0, s5, v10, s0
	v_lshlrev_b32_e32 v9, 2, v8
	s_delay_alu instid0(VALU_DEP_3) | instskip(SKIP_1) | instid1(VALU_DEP_3)
	v_add_co_u32 v0, s0, v0, v6
	s_wait_alu 0xf1ff
	v_add_co_ci_u32_e64 v3, s0, v3, v7, s0
	s_delay_alu instid0(VALU_DEP_2) | instskip(SKIP_1) | instid1(VALU_DEP_2)
	v_add_co_u32 v6, s0, v0, v9
	s_wait_alu 0xf1ff
	v_add_co_ci_u32_e64 v7, s0, 0, v3, s0
	v_mov_b32_e32 v3, v8
	s_clause 0xf
	global_load_b32 v19, v[6:7], off offset:2560
	global_load_b32 v14, v[6:7], off offset:2880
	;; [unrolled: 1-line block ×8, first 2 shown]
	global_load_b32 v9, v[6:7], off
	global_load_b32 v16, v[6:7], off offset:320
	global_load_b32 v23, v[6:7], off offset:640
	;; [unrolled: 1-line block ×7, first 2 shown]
	s_wait_loadcnt 0xf
	v_lshrrev_b32_e32 v10, 16, v19
	s_wait_loadcnt 0xe
	v_lshrrev_b32_e32 v26, 16, v14
	s_wait_loadcnt 0xd
	v_lshrrev_b32_e32 v30, 16, v22
	s_wait_loadcnt 0xc
	v_lshrrev_b32_e32 v20, 16, v12
	s_wait_loadcnt 0xb
	v_lshrrev_b32_e32 v33, 16, v29
	s_wait_loadcnt 0xa
	v_lshrrev_b32_e32 v27, 16, v18
	s_wait_loadcnt 0x9
	v_lshrrev_b32_e32 v31, 16, v28
	s_wait_loadcnt 0x8
	v_lshrrev_b32_e32 v24, 16, v17
.LBB0_13:
	s_or_b32 exec_lo, exec_lo, s1
	s_wait_loadcnt 0x7
	v_sub_f16_e32 v0, v9, v19
	s_wait_loadcnt 0x5
	v_lshrrev_b32_e32 v19, 16, v23
	s_wait_loadcnt 0x3
	v_lshrrev_b32_e32 v7, 16, v25
	;; [unrolled: 2-line block ×3, first 2 shown]
	v_sub_f16_e32 v18, v15, v18
	v_sub_f16_e32 v22, v23, v22
	;; [unrolled: 1-line block ×5, first 2 shown]
	v_fma_f16 v38, v15, 2.0, -v18
	v_fma_f16 v23, v23, 2.0, -v22
	;; [unrolled: 1-line block ×3, first 2 shown]
	v_sub_f16_e32 v19, v34, v31
	v_lshrrev_b32_e32 v31, 16, v15
	s_wait_loadcnt 0x0
	v_lshrrev_b32_e32 v15, 16, v11
	v_fma_f16 v21, v21, 2.0, -v28
	v_lshrrev_b32_e32 v35, 16, v16
	v_sub_f16_e32 v14, v16, v14
	v_sub_f16_e32 v27, v31, v27
	;; [unrolled: 1-line block ×3, first 2 shown]
	v_lshrrev_b32_e32 v36, 16, v13
	v_sub_f16_e32 v12, v13, v12
	v_sub_f16_e32 v6, v25, v29
	;; [unrolled: 1-line block ×3, first 2 shown]
	v_fma_f16 v41, v15, 2.0, -v24
	v_sub_f16_e32 v15, v23, v21
	v_fma_f16 v34, v34, 2.0, -v19
	v_sub_f16_e32 v20, v36, v20
	v_sub_f16_e32 v17, v11, v17
	v_add_f16_e32 v40, v0, v32
	v_add_f16_e32 v47, v22, v19
	v_fma_f16 v19, v23, 2.0, -v15
	v_add_f16_e32 v23, v14, v27
	v_add_f16_e32 v24, v12, v24
	v_fma_f16 v29, v9, 2.0, -v0
	v_fma_f16 v25, v25, 2.0, -v6
	;; [unrolled: 1-line block ×9, first 2 shown]
	v_sub_f16_e32 v28, v30, v28
	v_fma_f16 v48, v22, 2.0, -v47
	v_sub_f16_e32 v18, v26, v18
	v_fma_f16 v14, v14, 2.0, -v23
	;; [unrolled: 2-line block ×3, first 2 shown]
	v_sub_f16_e32 v25, v29, v25
	v_sub_f16_e32 v37, v33, v34
	;; [unrolled: 1-line block ×4, first 2 shown]
	v_fma_f16 v30, v30, 2.0, -v28
	v_sub_f16_e32 v11, v13, v11
	v_sub_f16_e32 v27, v36, v41
	v_fma_f16 v26, v26, 2.0, -v18
	v_fmamk_f16 v31, v48, 0xb9a8, v0
	v_fmamk_f16 v44, v47, 0x39a8, v40
	v_fma_f16 v20, v20, 2.0, -v17
	v_fmamk_f16 v34, v12, 0xb9a8, v14
	v_fmamk_f16 v41, v24, 0x39a8, v23
	v_fma_f16 v29, v29, 2.0, -v25
	v_fma_f16 v16, v16, 2.0, -v21
	;; [unrolled: 1-line block ×5, first 2 shown]
	v_fmac_f16_e32 v31, 0x39a8, v30
	v_add_f16_e32 v49, v25, v37
	v_fmac_f16_e32 v44, 0x39a8, v28
	v_fmamk_f16 v35, v20, 0xb9a8, v26
	v_fmac_f16_e32 v34, 0x39a8, v20
	v_add_f16_e32 v51, v21, v27
	v_fmamk_f16 v42, v17, 0x39a8, v18
	v_fmac_f16_e32 v41, 0x39a8, v17
	v_sub_f16_e32 v19, v29, v19
	v_fma_f16 v0, v0, 2.0, -v31
	v_fma_f16 v25, v25, 2.0, -v49
	v_sub_f16_e32 v38, v16, v13
	v_fma_f16 v13, v40, 2.0, -v44
	v_sub_f16_e32 v46, v39, v36
	v_fmac_f16_e32 v35, 0xb9a8, v12
	v_fma_f16 v36, v14, 2.0, -v34
	v_sub_f16_e32 v55, v22, v11
	v_fma_f16 v56, v21, 2.0, -v51
	v_fmac_f16_e32 v42, 0xb9a8, v24
	v_fma_f16 v43, v23, 2.0, -v41
	v_fma_f16 v29, v29, 2.0, -v19
	;; [unrolled: 1-line block ×5, first 2 shown]
	v_fmamk_f16 v14, v36, 0xbb64, v0
	v_fmamk_f16 v16, v56, 0xb9a8, v25
	v_fma_f16 v45, v18, 2.0, -v42
	v_fmamk_f16 v18, v43, 0xb61f, v13
	v_fmamk_f16 v21, v51, 0x39a8, v49
	;; [unrolled: 1-line block ×4, first 2 shown]
	v_sub_f16_e32 v12, v29, v12
	v_fmac_f16_e32 v14, 0x361f, v40
	v_fmac_f16_e32 v16, 0x39a8, v57
	;; [unrolled: 1-line block ×3, first 2 shown]
	v_add_f16_e32 v23, v19, v46
	v_fmac_f16_e32 v21, 0x39a8, v55
	v_fmac_f16_e32 v11, 0x361f, v42
	;; [unrolled: 1-line block ×3, first 2 shown]
	v_fma_f16 v17, v29, 2.0, -v12
	v_fma_f16 v0, v0, 2.0, -v14
	v_fma_f16 v20, v25, 2.0, -v16
	v_fma_f16 v13, v13, 2.0, -v18
	v_fma_f16 v19, v19, 2.0, -v23
	v_fma_f16 v24, v49, 2.0, -v21
	v_fma_f16 v25, v44, 2.0, -v11
	v_fma_f16 v26, v31, 2.0, -v22
	v_lshl_add_u32 v44, v8, 5, 0
	v_pack_b32_f16 v13, v20, v13
	v_pack_b32_f16 v0, v17, v0
	;; [unrolled: 1-line block ×8, first 2 shown]
	s_load_b64 s[2:3], s[2:3], 0x0
	ds_store_2addr_b32 v44, v0, v13 offset1:1
	ds_store_2addr_b32 v44, v19, v17 offset0:2 offset1:3
	ds_store_2addr_b32 v44, v12, v16 offset0:4 offset1:5
	ds_store_2addr_b32 v44, v18, v14 offset0:6 offset1:7
	v_mad_i32_i24 v0, 0xffffffe2, v8, v44
	global_wb scope:SCOPE_SE
	s_wait_dscnt 0x0
	s_wait_kmcnt 0x0
	s_barrier_signal -1
	s_barrier_wait -1
	global_inv scope:SCOPE_SE
	ds_load_u16 v12, v0
	ds_load_u16 v13, v0 offset:160
	ds_load_u16 v20, v0 offset:672
	;; [unrolled: 1-line block ×14, first 2 shown]
	v_mul_f16_e32 v50, 0x39a8, v48
	v_mul_f16_e32 v53, 0x39a8, v30
	;; [unrolled: 1-line block ×8, first 2 shown]
	v_cmp_gt_u32_e64 s0, 16, v8
                                        ; implicit-def: $vgpr28
                                        ; implicit-def: $vgpr29
                                        ; implicit-def: $vgpr30
                                        ; implicit-def: $vgpr31
	s_delay_alu instid0(VALU_DEP_1)
	s_and_saveexec_b32 s1, s0
	s_cbranch_execz .LBB0_15
; %bb.14:
	ds_load_u16 v11, v0 offset:480
	ds_load_u16 v31, v0 offset:992
	;; [unrolled: 1-line block ×5, first 2 shown]
.LBB0_15:
	s_wait_alu 0xfffe
	s_or_b32 exec_lo, exec_lo, s1
	v_lshrrev_b32_e32 v9, 16, v9
	v_fma_f16 v7, v7, 2.0, -v32
	v_fma_f16 v32, v33, 2.0, -v37
	;; [unrolled: 1-line block ×3, first 2 shown]
	global_wb scope:SCOPE_SE
	s_wait_dscnt 0x0
	v_sub_f16_e32 v10, v9, v10
	s_barrier_signal -1
	s_barrier_wait -1
	global_inv scope:SCOPE_SE
                                        ; implicit-def: $vgpr55
                                        ; implicit-def: $vgpr56
	v_sub_f16_e32 v6, v10, v6
	v_fma_f16 v9, v9, 2.0, -v10
	s_delay_alu instid0(VALU_DEP_2) | instskip(NEXT) | instid1(VALU_DEP_2)
	v_fma_f16 v10, v10, 2.0, -v6
	v_sub_f16_e32 v7, v9, v7
	v_add_f16_e32 v37, v6, v54
                                        ; implicit-def: $vgpr54
	s_delay_alu instid0(VALU_DEP_3) | instskip(NEXT) | instid1(VALU_DEP_3)
	v_sub_f16_e32 v39, v10, v53
	v_fma_f16 v9, v9, 2.0, -v7
	v_sub_f16_e32 v15, v7, v15
	s_delay_alu instid0(VALU_DEP_4) | instskip(NEXT) | instid1(VALU_DEP_4)
	v_sub_f16_e32 v37, v37, v52
                                        ; implicit-def: $vgpr53
	v_sub_f16_e32 v39, v39, v50
	s_delay_alu instid0(VALU_DEP_4) | instskip(NEXT) | instid1(VALU_DEP_4)
	v_sub_f16_e32 v32, v9, v32
	v_fma_f16 v7, v7, 2.0, -v15
	s_delay_alu instid0(VALU_DEP_4)
	v_fma_f16 v46, v6, 2.0, -v37
	v_fmamk_f16 v6, v42, 0x3b64, v37
	v_fma_f16 v10, v10, 2.0, -v39
	v_fma_f16 v9, v9, 2.0, -v32
	v_sub_f16_e32 v42, v7, v49
	v_fmamk_f16 v45, v45, 0xb61f, v46
	v_add_f16_e32 v50, v15, v51
	v_fmamk_f16 v40, v40, 0xbb64, v10
	v_fmamk_f16 v35, v35, 0x361f, v39
	v_fmac_f16_e32 v6, 0xb61f, v41
	v_sub_f16_e32 v33, v9, v33
	v_sub_f16_e32 v41, v42, v47
	v_fmac_f16_e32 v45, 0xbb64, v43
	v_fmac_f16_e32 v40, 0xb61f, v36
	v_sub_f16_e32 v38, v32, v38
	v_sub_f16_e32 v48, v50, v48
	v_fmac_f16_e32 v35, 0xbb64, v34
	v_fma_f16 v34, v37, 2.0, -v6
	v_fma_f16 v9, v9, 2.0, -v33
	;; [unrolled: 1-line block ×8, first 2 shown]
	v_pack_b32_f16 v7, v7, v37
	v_pack_b32_f16 v9, v9, v10
	;; [unrolled: 1-line block ×8, first 2 shown]
	ds_store_2addr_b32 v44, v9, v7 offset1:1
	ds_store_2addr_b32 v44, v10, v15 offset0:2 offset1:3
	ds_store_2addr_b32 v44, v32, v34 offset0:4 offset1:5
	;; [unrolled: 1-line block ×3, first 2 shown]
	global_wb scope:SCOPE_SE
	s_wait_dscnt 0x0
	s_barrier_signal -1
	s_barrier_wait -1
	global_inv scope:SCOPE_SE
	ds_load_u16 v7, v0
	ds_load_u16 v9, v0 offset:160
	ds_load_u16 v43, v0 offset:672
	;; [unrolled: 1-line block ×14, first 2 shown]
	s_and_saveexec_b32 s1, s0
	s_cbranch_execz .LBB0_17
; %bb.16:
	ds_load_u16 v6, v0 offset:480
	ds_load_u16 v56, v0 offset:992
	;; [unrolled: 1-line block ×5, first 2 shown]
.LBB0_17:
	s_wait_alu 0xfffe
	s_or_b32 exec_lo, exec_lo, s1
	v_lshlrev_b32_e32 v15, 4, v8
	v_and_b32_e32 v32, 15, v8
	v_lshrrev_b32_e32 v37, 4, v8
	v_add_nc_u32_e32 v36, 0xa0, v8
	s_delay_alu instid0(VALU_DEP_4)
	v_and_b32_e32 v15, 0xf0, v15
	s_clause 0x7
	global_load_b32 v67, v15, s[8:9]
	global_load_b32 v33, v15, s[8:9] offset:2
	global_load_b32 v68, v15, s[8:9] offset:4
	;; [unrolled: 1-line block ×6, first 2 shown]
	global_load_u16 v51, v15, s[8:9] offset:14
	v_lshlrev_b32_e32 v15, 4, v32
	v_mul_u32_u24_e32 v37, 0x50, v37
	v_lshrrev_b32_e32 v36, 4, v36
	global_load_u16 v71, v15, s[8:9]
	v_add_nc_u32_e32 v15, 0x50, v8
	v_or_b32_e32 v37, v37, v32
	v_mul_u32_u24_e32 v36, 0x50, v36
	global_wb scope:SCOPE_SE
	s_wait_loadcnt_dscnt 0x0
	s_barrier_signal -1
	v_lshrrev_b32_e32 v38, 4, v15
	v_lshl_add_u32 v15, v8, 1, 0
	s_barrier_wait -1
	global_inv scope:SCOPE_SE
	v_mul_u32_u24_e32 v38, 0x50, v38
	s_delay_alu instid0(VALU_DEP_1) | instskip(SKIP_2) | instid1(VALU_DEP_3)
	v_or_b32_e32 v52, v38, v32
	v_lshl_add_u32 v38, v37, 1, 0
	v_or_b32_e32 v32, v36, v32
	v_lshl_add_u32 v37, v52, 1, 0
	s_delay_alu instid0(VALU_DEP_2)
	v_lshl_add_u32 v36, v32, 1, 0
	v_lshrrev_b32_e32 v52, 16, v67
	v_lshrrev_b32_e32 v72, 16, v33
	v_lshrrev_b32_e32 v58, 16, v68
	v_lshrrev_b32_e32 v73, 16, v34
	v_lshrrev_b32_e32 v74, 16, v69
	v_lshrrev_b32_e32 v75, 16, v35
	v_lshrrev_b32_e32 v76, 16, v70
	v_mul_f16_e32 v64, v47, v58
	v_mul_f16_e32 v63, v48, v52
	;; [unrolled: 1-line block ×27, first 2 shown]
	v_fmac_f16_e32 v64, v24, v72
	v_fmac_f16_e32 v65, v27, v73
	v_mul_f16_e32 v83, v27, v74
	v_fmac_f16_e32 v63, v25, v71
	v_fmac_f16_e32 v66, v26, v75
	v_mul_f16_e32 v87, v16, v74
	v_mul_f16_e32 v88, v22, v76
	;; [unrolled: 1-line block ×4, first 2 shown]
	v_fmac_f16_e32 v61, v20, v71
	v_fmac_f16_e32 v59, v19, v72
	;; [unrolled: 1-line block ×9, first 2 shown]
	v_fma_f16 v28, v53, v70, -v80
	v_fma_f16 v48, v48, v71, -v81
	v_fma_f16 v53, v47, v72, -v82
	v_fma_f16 v47, v49, v75, -v84
	v_add_f16_e32 v21, v64, v65
	v_fma_f16 v27, v50, v73, -v83
	v_fma_f16 v25, v42, v72, -v86
	v_add_f16_e32 v42, v63, v66
	v_fmac_f16_e32 v32, v31, v67
	v_fma_f16 v31, v56, v67, -v77
	v_fmac_f16_e32 v33, v30, v68
	v_fma_f16 v30, v55, v68, -v78
	;; [unrolled: 2-line block ×3, first 2 shown]
	v_fma_f16 v24, v43, v71, -v85
	v_fma_f16 v26, v39, v73, -v87
	;; [unrolled: 1-line block ×7, first 2 shown]
	v_add_f16_e32 v18, v12, v63
	v_sub_f16_e32 v40, v63, v64
	v_sub_f16_e32 v41, v66, v65
	;; [unrolled: 1-line block ×4, first 2 shown]
	v_add_f16_e32 v46, v59, v60
	v_sub_f16_e32 v54, v61, v59
	v_sub_f16_e32 v55, v62, v60
	v_add_f16_e32 v56, v61, v62
	v_add_f16_e32 v70, v51, v52
	;; [unrolled: 1-line block ×3, first 2 shown]
	v_sub_f16_e32 v23, v48, v47
	v_add_f16_e32 v45, v13, v61
	v_sub_f16_e32 v67, v59, v61
	v_sub_f16_e32 v68, v60, v62
	v_fma_f16 v21, -0.5, v21, v12
	v_sub_f16_e32 v39, v53, v27
	v_fmac_f16_e32 v12, -0.5, v42
	v_sub_f16_e32 v49, v24, v22
	v_sub_f16_e32 v50, v25, v26
	v_add_f16_e32 v69, v14, v57
	v_sub_f16_e32 v71, v17, v16
	v_sub_f16_e32 v72, v19, v20
	;; [unrolled: 1-line block ×4, first 2 shown]
	v_add_f16_e32 v18, v18, v64
	v_add_f16_e32 v40, v40, v41
	;; [unrolled: 1-line block ×3, first 2 shown]
	v_fma_f16 v43, -0.5, v46, v13
	v_add_f16_e32 v44, v54, v55
	v_fmac_f16_e32 v13, -0.5, v56
	v_fma_f16 v54, -0.5, v70, v14
	v_fmac_f16_e32 v14, -0.5, v75
	v_add_f16_e32 v42, v45, v59
	v_add_f16_e32 v45, v67, v68
	v_fmamk_f16 v67, v23, 0xbb9c, v21
	v_fmamk_f16 v68, v39, 0x3b9c, v12
	v_fmac_f16_e32 v12, 0xbb9c, v39
	v_fmac_f16_e32 v21, 0x3b9c, v23
	v_sub_f16_e32 v76, v51, v57
	v_sub_f16_e32 v77, v52, v58
	v_add_f16_e32 v46, v69, v51
	v_add_f16_e32 v55, v73, v74
	;; [unrolled: 1-line block ×3, first 2 shown]
	v_fmamk_f16 v69, v49, 0xbb9c, v43
	v_fmac_f16_e32 v43, 0x3b9c, v49
	v_fmamk_f16 v70, v50, 0x3b9c, v13
	v_fmac_f16_e32 v13, 0xbb9c, v50
	;; [unrolled: 2-line block ×4, first 2 shown]
	v_fmac_f16_e32 v67, 0xb8b4, v39
	v_fmac_f16_e32 v68, 0xb8b4, v23
	;; [unrolled: 1-line block ×4, first 2 shown]
	v_add_f16_e32 v56, v76, v77
	v_add_f16_e32 v42, v42, v60
	;; [unrolled: 1-line block ×4, first 2 shown]
	v_fmac_f16_e32 v69, 0xb8b4, v50
	v_fmac_f16_e32 v43, 0x38b4, v50
	;; [unrolled: 1-line block ×12, first 2 shown]
	v_add_f16_e32 v23, v42, v62
	v_add_f16_e32 v39, v46, v58
	v_fmac_f16_e32 v69, 0x34f2, v44
	v_fmac_f16_e32 v43, 0x34f2, v44
	;; [unrolled: 1-line block ×8, first 2 shown]
	ds_store_b16 v38, v18
	ds_store_b16 v38, v67 offset:32
	ds_store_b16 v38, v68 offset:64
	ds_store_b16 v38, v12 offset:96
	ds_store_b16 v38, v21 offset:128
	ds_store_b16 v37, v23
	ds_store_b16 v37, v69 offset:32
	ds_store_b16 v37, v70 offset:64
	ds_store_b16 v37, v13 offset:96
	ds_store_b16 v37, v43 offset:128
	;; [unrolled: 5-line block ×3, first 2 shown]
	s_and_saveexec_b32 s1, s0
	s_cbranch_execz .LBB0_19
; %bb.18:
	v_add_f16_e32 v12, v32, v35
	v_add_f16_e32 v14, v33, v34
	v_sub_f16_e32 v23, v31, v28
	v_sub_f16_e32 v21, v30, v29
	;; [unrolled: 1-line block ×3, first 2 shown]
	v_fma_f16 v12, -0.5, v12, v11
	v_fma_f16 v14, -0.5, v14, v11
	v_add_f16_e32 v11, v11, v32
	v_sub_f16_e32 v18, v34, v35
	v_sub_f16_e32 v39, v32, v33
	;; [unrolled: 1-line block ×3, first 2 shown]
	v_fmamk_f16 v42, v23, 0x3b9c, v14
	v_add_f16_e32 v11, v11, v33
	v_fmac_f16_e32 v14, 0xbb9c, v23
	v_fmamk_f16 v40, v21, 0xbb9c, v12
	v_fmac_f16_e32 v12, 0x3b9c, v21
	v_add_f16_e32 v13, v13, v18
	v_add_f16_e32 v11, v11, v34
	;; [unrolled: 1-line block ×3, first 2 shown]
	v_fmac_f16_e32 v14, 0xb8b4, v21
	v_fmac_f16_e32 v12, 0xb8b4, v23
	;; [unrolled: 1-line block ×4, first 2 shown]
	v_add_f16_e32 v11, v11, v35
	v_fmac_f16_e32 v14, 0x34f2, v18
	v_fmac_f16_e32 v12, 0x34f2, v13
	;; [unrolled: 1-line block ×4, first 2 shown]
	ds_store_b16 v15, v11 offset:2400
	ds_store_b16 v15, v14 offset:2432
	ds_store_b16 v15, v12 offset:2464
	ds_store_b16 v15, v40 offset:2496
	ds_store_b16 v15, v42 offset:2528
.LBB0_19:
	s_wait_alu 0xfffe
	s_or_b32 exec_lo, exec_lo, s1
	v_add_f16_e32 v12, v7, v48
	v_add_f16_e32 v11, v53, v27
	v_sub_f16_e32 v13, v63, v66
	v_sub_f16_e32 v18, v48, v53
	v_add_f16_e32 v21, v48, v47
	v_add_f16_e32 v12, v12, v53
	v_fma_f16 v39, -0.5, v11, v7
	v_sub_f16_e32 v11, v47, v27
	v_sub_f16_e32 v14, v64, v65
	;; [unrolled: 1-line block ×3, first 2 shown]
	v_add_f16_e32 v12, v12, v27
	v_fmamk_f16 v40, v13, 0x3b9c, v39
	v_add_f16_e32 v11, v18, v11
	v_fmac_f16_e32 v7, -0.5, v21
	v_fmac_f16_e32 v39, 0xbb9c, v13
	v_sub_f16_e32 v18, v27, v47
	v_add_f16_e32 v42, v12, v47
	v_add_f16_e32 v12, v25, v26
	v_fmac_f16_e32 v40, 0x38b4, v14
	v_fmamk_f16 v41, v14, 0xbb9c, v7
	v_fmac_f16_e32 v39, 0xb8b4, v14
	v_add_f16_e32 v18, v23, v18
	v_fmac_f16_e32 v7, 0x3b9c, v14
	v_add_f16_e32 v14, v9, v24
	v_fma_f16 v43, -0.5, v12, v9
	v_sub_f16_e32 v12, v61, v62
	v_add_f16_e32 v23, v24, v22
	v_fmac_f16_e32 v40, 0x34f2, v11
	v_fmac_f16_e32 v41, 0x38b4, v13
	;; [unrolled: 1-line block ×4, first 2 shown]
	v_add_f16_e32 v11, v14, v25
	v_fmamk_f16 v44, v12, 0x3b9c, v43
	v_sub_f16_e32 v13, v59, v60
	v_sub_f16_e32 v14, v24, v25
	;; [unrolled: 1-line block ×3, first 2 shown]
	v_fmac_f16_e32 v43, 0xbb9c, v12
	v_fmac_f16_e32 v9, -0.5, v23
	v_add_f16_e32 v11, v11, v26
	v_fmac_f16_e32 v44, 0x38b4, v13
	v_add_f16_e32 v14, v14, v21
	v_fmac_f16_e32 v43, 0xb8b4, v13
	v_fmamk_f16 v46, v13, 0xbb9c, v9
	v_fmac_f16_e32 v9, 0x3b9c, v13
	v_add_f16_e32 v13, v10, v17
	v_fmac_f16_e32 v41, 0x34f2, v18
	v_fmac_f16_e32 v7, 0x34f2, v18
	v_add_f16_e32 v45, v11, v22
	v_fmac_f16_e32 v44, 0x34f2, v14
	v_fmac_f16_e32 v43, 0x34f2, v14
	v_add_f16_e32 v11, v19, v20
	v_sub_f16_e32 v14, v25, v24
	v_sub_f16_e32 v18, v26, v22
	v_fmac_f16_e32 v46, 0x38b4, v12
	v_fmac_f16_e32 v9, 0xb8b4, v12
	v_add_f16_e32 v12, v13, v19
	v_add_f16_e32 v13, v17, v16
	v_fma_f16 v47, -0.5, v11, v10
	v_sub_f16_e32 v11, v57, v58
	v_add_f16_e32 v14, v14, v18
	v_sub_f16_e32 v18, v51, v52
	v_fmac_f16_e32 v10, -0.5, v13
	v_sub_f16_e32 v13, v17, v19
	v_fmamk_f16 v48, v11, 0x3b9c, v47
	v_fmac_f16_e32 v46, 0x34f2, v14
	v_fmac_f16_e32 v9, 0x34f2, v14
	v_sub_f16_e32 v14, v16, v20
	v_fmac_f16_e32 v47, 0xbb9c, v11
	v_fmamk_f16 v49, v18, 0xbb9c, v10
	v_sub_f16_e32 v17, v19, v17
	v_sub_f16_e32 v19, v20, v16
	v_fmac_f16_e32 v10, 0x3b9c, v18
	v_add_f16_e32 v12, v12, v20
	v_fmac_f16_e32 v48, 0x38b4, v18
	v_add_f16_e32 v13, v13, v14
	v_fmac_f16_e32 v47, 0xb8b4, v18
	v_fmac_f16_e32 v49, 0x38b4, v11
	v_add_f16_e32 v14, v17, v19
	v_fmac_f16_e32 v10, 0xb8b4, v11
	v_add_f16_e32 v50, v12, v16
	v_fmac_f16_e32 v48, 0x34f2, v13
	v_fmac_f16_e32 v47, 0x34f2, v13
	v_fmac_f16_e32 v49, 0x34f2, v14
	v_fmac_f16_e32 v10, 0x34f2, v14
	global_wb scope:SCOPE_SE
	s_wait_dscnt 0x0
	s_barrier_signal -1
	s_barrier_wait -1
	global_inv scope:SCOPE_SE
	ds_load_u16 v11, v0
	ds_load_u16 v13, v0 offset:160
	ds_load_u16 v14, v0 offset:320
	;; [unrolled: 1-line block ×15, first 2 shown]
	global_wb scope:SCOPE_SE
	s_wait_dscnt 0x0
	s_barrier_signal -1
	s_barrier_wait -1
	global_inv scope:SCOPE_SE
	ds_store_b16 v38, v42
	ds_store_b16 v38, v40 offset:32
	ds_store_b16 v38, v41 offset:64
	ds_store_b16 v38, v7 offset:96
	ds_store_b16 v38, v39 offset:128
	ds_store_b16 v37, v45
	ds_store_b16 v37, v44 offset:32
	ds_store_b16 v37, v46 offset:64
	ds_store_b16 v37, v9 offset:96
	ds_store_b16 v37, v43 offset:128
	;; [unrolled: 5-line block ×3, first 2 shown]
	s_and_saveexec_b32 s1, s0
	s_cbranch_execz .LBB0_21
; %bb.20:
	v_add_f16_e32 v7, v30, v29
	v_add_f16_e32 v9, v6, v31
	v_sub_f16_e32 v10, v32, v35
	v_sub_f16_e32 v32, v33, v34
	v_add_f16_e32 v33, v31, v28
	v_fma_f16 v7, -0.5, v7, v6
	v_add_f16_e32 v9, v9, v30
	v_sub_f16_e32 v34, v31, v30
	v_sub_f16_e32 v35, v28, v29
	v_fmac_f16_e32 v6, -0.5, v33
	v_fmamk_f16 v33, v10, 0x3b9c, v7
	v_sub_f16_e32 v30, v30, v31
	v_sub_f16_e32 v31, v29, v28
	v_add_f16_e32 v9, v9, v29
	v_fmamk_f16 v29, v32, 0xbb9c, v6
	v_fmac_f16_e32 v6, 0x3b9c, v32
	v_fmac_f16_e32 v7, 0xbb9c, v10
	v_fmac_f16_e32 v33, 0x38b4, v32
	v_add_f16_e32 v34, v34, v35
	v_fmac_f16_e32 v29, 0x38b4, v10
	v_add_f16_e32 v30, v30, v31
	v_fmac_f16_e32 v6, 0xb8b4, v10
	v_fmac_f16_e32 v7, 0xb8b4, v32
	v_add_f16_e32 v9, v9, v28
	v_fmac_f16_e32 v33, 0x34f2, v34
	v_fmac_f16_e32 v29, 0x34f2, v30
	;; [unrolled: 1-line block ×4, first 2 shown]
	ds_store_b16 v15, v9 offset:2400
	ds_store_b16 v15, v33 offset:2432
	;; [unrolled: 1-line block ×5, first 2 shown]
.LBB0_21:
	s_wait_alu 0xfffe
	s_or_b32 exec_lo, exec_lo, s1
	global_wb scope:SCOPE_SE
	s_wait_dscnt 0x0
	s_barrier_signal -1
	s_barrier_wait -1
	global_inv scope:SCOPE_SE
	s_and_saveexec_b32 s0, vcc_lo
	s_cbranch_execz .LBB0_23
; %bb.22:
	v_mul_u32_u24_e32 v6, 15, v8
	v_mul_lo_u32 v39, s2, v5
	v_lshlrev_b64_e32 v[1:2], 2, v[1:2]
	s_delay_alu instid0(VALU_DEP_3)
	v_lshlrev_b32_e32 v10, 2, v6
	s_clause 0x3
	global_load_b128 v[6:9], v10, s[8:9] offset:256
	global_load_b128 v[28:31], v10, s[8:9] offset:288
	;; [unrolled: 1-line block ×3, first 2 shown]
	global_load_b96 v[36:38], v10, s[8:9] offset:304
	v_mul_lo_u32 v10, s3, v4
	v_mad_co_u64_u32 v[4:5], null, s2, v4, 0
	ds_load_u16 v41, v0 offset:1440
	ds_load_u16 v15, v15 offset:480
	ds_load_u16 v42, v0 offset:320
	ds_load_u16 v43, v0 offset:2400
	ds_load_u16 v44, v0 offset:2240
	ds_load_u16 v45, v0 offset:2080
	ds_load_u16 v46, v0 offset:1920
	v_add3_u32 v5, v5, v39, v10
	ds_load_u16 v10, v0 offset:1760
	ds_load_u16 v47, v0 offset:1600
	;; [unrolled: 1-line block ×5, first 2 shown]
	v_lshlrev_b64_e32 v[39:40], 2, v[4:5]
	ds_load_u16 v5, v0 offset:800
	ds_load_u16 v51, v0 offset:640
	v_mov_b32_e32 v4, 0
	v_add_co_u32 v39, vcc_lo, s6, v39
	s_wait_alu 0xfffd
	v_add_co_ci_u32_e32 v40, vcc_lo, s7, v40, vcc_lo
	s_delay_alu instid0(VALU_DEP_3) | instskip(NEXT) | instid1(VALU_DEP_3)
	v_lshlrev_b64_e32 v[3:4], 2, v[3:4]
	v_add_co_u32 v1, vcc_lo, v39, v1
	s_wait_alu 0xfffd
	s_delay_alu instid0(VALU_DEP_3)
	v_add_co_ci_u32_e32 v2, vcc_lo, v40, v2, vcc_lo
	ds_load_u16 v39, v0 offset:160
	ds_load_u16 v40, v0
	v_add_co_u32 v0, vcc_lo, v1, v3
	s_wait_alu 0xfffd
	v_add_co_ci_u32_e32 v1, vcc_lo, v2, v4, vcc_lo
	s_wait_loadcnt 0x3
	v_lshrrev_b32_e32 v2, 16, v6
	v_lshrrev_b32_e32 v3, 16, v7
	v_lshrrev_b32_e32 v4, 16, v8
	v_lshrrev_b32_e32 v52, 16, v9
	s_wait_loadcnt 0x2
	v_lshrrev_b32_e32 v53, 16, v28
	v_lshrrev_b32_e32 v54, 16, v29
	v_lshrrev_b32_e32 v55, 16, v30
	v_lshrrev_b32_e32 v56, 16, v31
	;; [unrolled: 5-line block ×3, first 2 shown]
	s_wait_loadcnt 0x0
	v_lshrrev_b32_e32 v62, 16, v36
	v_lshrrev_b32_e32 v63, 16, v37
	v_lshrrev_b32_e32 v64, 16, v38
	v_mul_f16_e32 v66, v26, v34
	v_mul_f16_e32 v67, v27, v38
	;; [unrolled: 1-line block ×11, first 2 shown]
	s_wait_dscnt 0x5
	v_fmac_f16_e32 v66, v49, v59
	v_fmac_f16_e32 v67, v43, v64
	v_mul_f16_e32 v4, v15, v4
	v_mul_f16_e32 v55, v10, v55
	;; [unrolled: 1-line block ×12, first 2 shown]
	s_wait_dscnt 0x1
	v_mul_f16_e32 v2, v39, v2
	v_mul_f16_e32 v53, v41, v53
	;; [unrolled: 1-line block ×7, first 2 shown]
	v_fmac_f16_e32 v61, v5, v57
	v_fmac_f16_e32 v65, v45, v62
	;; [unrolled: 1-line block ×5, first 2 shown]
	v_fma_f16 v39, v39, v6, -v71
	v_fma_f16 v41, v41, v28, -v72
	v_fma_f16 v15, v15, v8, -v73
	v_fma_f16 v10, v10, v30, -v74
	v_fmac_f16_e32 v4, v20, v8
	v_fmac_f16_e32 v55, v19, v30
	v_fma_f16 v8, v49, v34, -v26
	v_fma_f16 v19, v43, v38, -v27
	v_fma_f16 v20, v42, v7, -v59
	v_fma_f16 v26, v47, v29, -v64
	v_fma_f16 v34, v51, v9, -v75
	v_fma_f16 v38, v46, v31, -v76
	v_fmac_f16_e32 v3, v14, v7
	v_fmac_f16_e32 v54, v18, v29
	v_fma_f16 v7, v50, v33, -v23
	v_fma_f16 v14, v44, v37, -v25
	v_fmac_f16_e32 v2, v13, v6
	v_fmac_f16_e32 v53, v17, v28
	v_fma_f16 v5, v5, v32, -v21
	v_fma_f16 v6, v45, v36, -v24
	;; [unrolled: 1-line block ×3, first 2 shown]
	v_fmac_f16_e32 v52, v12, v9
	v_fmac_f16_e32 v56, v16, v31
	v_sub_f16_e32 v57, v61, v65
	v_sub_f16_e32 v58, v66, v67
	;; [unrolled: 1-line block ×14, first 2 shown]
	s_wait_dscnt 0x0
	v_sub_f16_e32 v13, v40, v13
	v_sub_f16_e32 v22, v52, v56
	v_fma_f16 v11, v11, 2.0, -v30
	v_fma_f16 v24, v61, 2.0, -v57
	;; [unrolled: 1-line block ×3, first 2 shown]
	v_sub_f16_e32 v26, v9, v57
	v_sub_f16_e32 v28, v10, v58
	v_add_f16_e32 v29, v12, v16
	v_sub_f16_e32 v27, v17, v27
	v_add_f16_e32 v31, v30, v18
	v_add_f16_e32 v32, v19, v14
	;; [unrolled: 1-line block ×3, first 2 shown]
	v_sub_f16_e32 v35, v13, v22
	v_fma_f16 v5, v5, 2.0, -v6
	v_fma_f16 v6, v52, 2.0, -v22
	v_fma_f16 v20, v20, 2.0, -v17
	v_fma_f16 v7, v7, 2.0, -v14
	v_fma_f16 v2, v2, 2.0, -v21
	v_fma_f16 v14, v15, 2.0, -v10
	v_fma_f16 v8, v8, 2.0, -v16
	v_fma_f16 v23, v66, 2.0, -v58
	v_fma_f16 v36, v39, 2.0, -v9
	v_fma_f16 v4, v4, 2.0, -v12
	v_fma_f16 v15, v40, 2.0, -v13
	v_fma_f16 v16, v34, 2.0, -v18
	v_fma_f16 v3, v3, 2.0, -v19
	v_fma_f16 v9, v9, 2.0, -v26
	v_fma_f16 v10, v10, 2.0, -v28
	v_fma_f16 v12, v12, 2.0, -v29
	v_fma_f16 v17, v17, 2.0, -v27
	v_fma_f16 v18, v30, 2.0, -v31
	v_fma_f16 v19, v19, 2.0, -v32
	v_fma_f16 v21, v21, 2.0, -v33
	v_fma_f16 v13, v13, 2.0, -v35
	v_fmamk_f16 v22, v32, 0x39a8, v31
	v_fmamk_f16 v30, v28, 0x39a8, v26
	;; [unrolled: 1-line block ×3, first 2 shown]
	v_sub_f16_e32 v6, v11, v6
	v_sub_f16_e32 v7, v20, v7
	v_sub_f16_e32 v24, v2, v24
	v_sub_f16_e32 v8, v14, v8
	v_fmamk_f16 v37, v27, 0x39a8, v35
	v_sub_f16_e32 v5, v36, v5
	v_sub_f16_e32 v23, v4, v23
	;; [unrolled: 1-line block ×4, first 2 shown]
	v_fmamk_f16 v38, v10, 0xb9a8, v9
	v_fmamk_f16 v39, v19, 0xb9a8, v18
	;; [unrolled: 1-line block ×4, first 2 shown]
	v_fmac_f16_e32 v22, 0x39a8, v27
	v_fmac_f16_e32 v30, 0xb9a8, v29
	;; [unrolled: 1-line block ×3, first 2 shown]
	v_add_f16_e32 v28, v7, v6
	v_add_f16_e32 v29, v24, v8
	v_fmac_f16_e32 v37, 0xb9a8, v32
	v_sub_f16_e32 v27, v5, v23
	v_sub_f16_e32 v32, v16, v25
	v_fma_f16 v11, v11, 2.0, -v6
	v_fma_f16 v3, v3, 2.0, -v25
	;; [unrolled: 1-line block ×8, first 2 shown]
	v_fmac_f16_e32 v38, 0xb9a8, v12
	v_fmac_f16_e32 v39, 0x39a8, v17
	;; [unrolled: 1-line block ×4, first 2 shown]
	v_fmamk_f16 v10, v34, 0x3b64, v22
	v_fma_f16 v19, v31, 2.0, -v22
	v_fma_f16 v23, v33, 2.0, -v34
	;; [unrolled: 1-line block ×4, first 2 shown]
	v_fmamk_f16 v15, v29, 0x39a8, v28
	v_fmamk_f16 v17, v27, 0x39a8, v32
	v_sub_f16_e32 v3, v11, v3
	v_sub_f16_e32 v8, v25, v8
	;; [unrolled: 1-line block ×4, first 2 shown]
	v_fmamk_f16 v12, v30, 0x3b64, v37
	v_fma_f16 v20, v26, 2.0, -v30
	v_fma_f16 v26, v35, 2.0, -v37
	;; [unrolled: 1-line block ×4, first 2 shown]
	v_fmac_f16_e32 v10, 0x361f, v30
	v_fmamk_f16 v30, v23, 0xb61f, v19
	v_fmamk_f16 v35, v24, 0xb9a8, v6
	v_fma_f16 v18, v18, 2.0, -v39
	v_fma_f16 v9, v9, 2.0, -v38
	;; [unrolled: 1-line block ×4, first 2 shown]
	v_fmac_f16_e32 v15, 0x39a8, v27
	v_fmac_f16_e32 v17, 0xb9a8, v29
	v_add_f16_e32 v27, v8, v3
	v_sub_f16_e32 v29, v7, v4
	v_fma_f16 v11, v11, 2.0, -v3
	v_fma_f16 v2, v2, 2.0, -v4
	;; [unrolled: 1-line block ×4, first 2 shown]
	v_fmac_f16_e32 v12, 0xb61f, v34
	v_fmamk_f16 v34, v20, 0xb61f, v26
	v_fmamk_f16 v36, v5, 0xb9a8, v16
	v_fmac_f16_e32 v30, 0x3b64, v20
	v_fmac_f16_e32 v35, 0x39a8, v5
	v_fmamk_f16 v5, v21, 0xbb64, v18
	v_fmamk_f16 v20, v9, 0xbb64, v13
	;; [unrolled: 1-line block ×4, first 2 shown]
	v_sub_f16_e32 v2, v11, v2
	v_sub_f16_e32 v8, v4, v8
	v_fma_f16 v14, v22, 2.0, -v10
	v_fma_f16 v22, v37, 2.0, -v12
	v_fmac_f16_e32 v5, 0x361f, v9
	v_fmac_f16_e32 v20, 0xb61f, v21
	;; [unrolled: 1-line block ×6, first 2 shown]
	v_fma_f16 v9, v11, 2.0, -v2
	v_fma_f16 v4, v4, 2.0, -v8
	v_pack_b32_f16 v11, v14, v22
	v_fma_f16 v14, v18, 2.0, -v5
	v_fma_f16 v13, v13, 2.0, -v20
	;; [unrolled: 1-line block ×10, first 2 shown]
	v_pack_b32_f16 v15, v15, v17
	v_pack_b32_f16 v10, v10, v12
	v_fma_f16 v12, v39, 2.0, -v31
	v_fma_f16 v17, v41, 2.0, -v33
	v_pack_b32_f16 v4, v9, v4
	v_pack_b32_f16 v9, v14, v13
	;; [unrolled: 1-line block ×13, first 2 shown]
	s_clause 0xf
	global_store_b32 v[0:1], v4, off
	global_store_b32 v[0:1], v9, off offset:320
	global_store_b32 v[0:1], v6, off offset:640
	;; [unrolled: 1-line block ×15, first 2 shown]
.LBB0_23:
	s_nop 0
	s_sendmsg sendmsg(MSG_DEALLOC_VGPRS)
	s_endpgm
	.section	.rodata,"a",@progbits
	.p2align	6, 0x0
	.amdhsa_kernel fft_rtc_back_len1280_factors_16_5_16_wgs_80_tpt_80_halfLds_half_op_CI_CI_unitstride_sbrr_dirReg
		.amdhsa_group_segment_fixed_size 0
		.amdhsa_private_segment_fixed_size 0
		.amdhsa_kernarg_size 104
		.amdhsa_user_sgpr_count 2
		.amdhsa_user_sgpr_dispatch_ptr 0
		.amdhsa_user_sgpr_queue_ptr 0
		.amdhsa_user_sgpr_kernarg_segment_ptr 1
		.amdhsa_user_sgpr_dispatch_id 0
		.amdhsa_user_sgpr_private_segment_size 0
		.amdhsa_wavefront_size32 1
		.amdhsa_uses_dynamic_stack 0
		.amdhsa_enable_private_segment 0
		.amdhsa_system_sgpr_workgroup_id_x 1
		.amdhsa_system_sgpr_workgroup_id_y 0
		.amdhsa_system_sgpr_workgroup_id_z 0
		.amdhsa_system_sgpr_workgroup_info 0
		.amdhsa_system_vgpr_workitem_id 0
		.amdhsa_next_free_vgpr 91
		.amdhsa_next_free_sgpr 39
		.amdhsa_reserve_vcc 1
		.amdhsa_float_round_mode_32 0
		.amdhsa_float_round_mode_16_64 0
		.amdhsa_float_denorm_mode_32 3
		.amdhsa_float_denorm_mode_16_64 3
		.amdhsa_fp16_overflow 0
		.amdhsa_workgroup_processor_mode 1
		.amdhsa_memory_ordered 1
		.amdhsa_forward_progress 0
		.amdhsa_round_robin_scheduling 0
		.amdhsa_exception_fp_ieee_invalid_op 0
		.amdhsa_exception_fp_denorm_src 0
		.amdhsa_exception_fp_ieee_div_zero 0
		.amdhsa_exception_fp_ieee_overflow 0
		.amdhsa_exception_fp_ieee_underflow 0
		.amdhsa_exception_fp_ieee_inexact 0
		.amdhsa_exception_int_div_zero 0
	.end_amdhsa_kernel
	.text
.Lfunc_end0:
	.size	fft_rtc_back_len1280_factors_16_5_16_wgs_80_tpt_80_halfLds_half_op_CI_CI_unitstride_sbrr_dirReg, .Lfunc_end0-fft_rtc_back_len1280_factors_16_5_16_wgs_80_tpt_80_halfLds_half_op_CI_CI_unitstride_sbrr_dirReg
                                        ; -- End function
	.section	.AMDGPU.csdata,"",@progbits
; Kernel info:
; codeLenInByte = 8160
; NumSgprs: 41
; NumVgprs: 91
; ScratchSize: 0
; MemoryBound: 0
; FloatMode: 240
; IeeeMode: 1
; LDSByteSize: 0 bytes/workgroup (compile time only)
; SGPRBlocks: 5
; VGPRBlocks: 11
; NumSGPRsForWavesPerEU: 41
; NumVGPRsForWavesPerEU: 91
; Occupancy: 16
; WaveLimiterHint : 1
; COMPUTE_PGM_RSRC2:SCRATCH_EN: 0
; COMPUTE_PGM_RSRC2:USER_SGPR: 2
; COMPUTE_PGM_RSRC2:TRAP_HANDLER: 0
; COMPUTE_PGM_RSRC2:TGID_X_EN: 1
; COMPUTE_PGM_RSRC2:TGID_Y_EN: 0
; COMPUTE_PGM_RSRC2:TGID_Z_EN: 0
; COMPUTE_PGM_RSRC2:TIDIG_COMP_CNT: 0
	.text
	.p2alignl 7, 3214868480
	.fill 96, 4, 3214868480
	.type	__hip_cuid_85bc26e12d1b7ad0,@object ; @__hip_cuid_85bc26e12d1b7ad0
	.section	.bss,"aw",@nobits
	.globl	__hip_cuid_85bc26e12d1b7ad0
__hip_cuid_85bc26e12d1b7ad0:
	.byte	0                               ; 0x0
	.size	__hip_cuid_85bc26e12d1b7ad0, 1

	.ident	"AMD clang version 19.0.0git (https://github.com/RadeonOpenCompute/llvm-project roc-6.4.0 25133 c7fe45cf4b819c5991fe208aaa96edf142730f1d)"
	.section	".note.GNU-stack","",@progbits
	.addrsig
	.addrsig_sym __hip_cuid_85bc26e12d1b7ad0
	.amdgpu_metadata
---
amdhsa.kernels:
  - .args:
      - .actual_access:  read_only
        .address_space:  global
        .offset:         0
        .size:           8
        .value_kind:     global_buffer
      - .offset:         8
        .size:           8
        .value_kind:     by_value
      - .actual_access:  read_only
        .address_space:  global
        .offset:         16
        .size:           8
        .value_kind:     global_buffer
      - .actual_access:  read_only
        .address_space:  global
        .offset:         24
        .size:           8
        .value_kind:     global_buffer
      - .actual_access:  read_only
        .address_space:  global
        .offset:         32
        .size:           8
        .value_kind:     global_buffer
      - .offset:         40
        .size:           8
        .value_kind:     by_value
      - .actual_access:  read_only
        .address_space:  global
        .offset:         48
        .size:           8
        .value_kind:     global_buffer
      - .actual_access:  read_only
        .address_space:  global
        .offset:         56
        .size:           8
        .value_kind:     global_buffer
      - .offset:         64
        .size:           4
        .value_kind:     by_value
      - .actual_access:  read_only
        .address_space:  global
        .offset:         72
        .size:           8
        .value_kind:     global_buffer
      - .actual_access:  read_only
        .address_space:  global
        .offset:         80
        .size:           8
        .value_kind:     global_buffer
      - .actual_access:  read_only
        .address_space:  global
        .offset:         88
        .size:           8
        .value_kind:     global_buffer
      - .actual_access:  write_only
        .address_space:  global
        .offset:         96
        .size:           8
        .value_kind:     global_buffer
    .group_segment_fixed_size: 0
    .kernarg_segment_align: 8
    .kernarg_segment_size: 104
    .language:       OpenCL C
    .language_version:
      - 2
      - 0
    .max_flat_workgroup_size: 80
    .name:           fft_rtc_back_len1280_factors_16_5_16_wgs_80_tpt_80_halfLds_half_op_CI_CI_unitstride_sbrr_dirReg
    .private_segment_fixed_size: 0
    .sgpr_count:     41
    .sgpr_spill_count: 0
    .symbol:         fft_rtc_back_len1280_factors_16_5_16_wgs_80_tpt_80_halfLds_half_op_CI_CI_unitstride_sbrr_dirReg.kd
    .uniform_work_group_size: 1
    .uses_dynamic_stack: false
    .vgpr_count:     91
    .vgpr_spill_count: 0
    .wavefront_size: 32
    .workgroup_processor_mode: 1
amdhsa.target:   amdgcn-amd-amdhsa--gfx1201
amdhsa.version:
  - 1
  - 2
...

	.end_amdgpu_metadata
